;; amdgpu-corpus repo=ROCm/rocFFT kind=compiled arch=gfx950 opt=O3
	.text
	.amdgcn_target "amdgcn-amd-amdhsa--gfx950"
	.amdhsa_code_object_version 6
	.protected	fft_rtc_fwd_len84_factors_7_2_6_wgs_120_tpt_12_halfLds_dp_op_CI_CI_unitstride_sbrr_dirReg ; -- Begin function fft_rtc_fwd_len84_factors_7_2_6_wgs_120_tpt_12_halfLds_dp_op_CI_CI_unitstride_sbrr_dirReg
	.globl	fft_rtc_fwd_len84_factors_7_2_6_wgs_120_tpt_12_halfLds_dp_op_CI_CI_unitstride_sbrr_dirReg
	.p2align	8
	.type	fft_rtc_fwd_len84_factors_7_2_6_wgs_120_tpt_12_halfLds_dp_op_CI_CI_unitstride_sbrr_dirReg,@function
fft_rtc_fwd_len84_factors_7_2_6_wgs_120_tpt_12_halfLds_dp_op_CI_CI_unitstride_sbrr_dirReg: ; @fft_rtc_fwd_len84_factors_7_2_6_wgs_120_tpt_12_halfLds_dp_op_CI_CI_unitstride_sbrr_dirReg
; %bb.0:
	s_load_dwordx4 s[8:11], s[0:1], 0x58
	s_load_dwordx4 s[4:7], s[0:1], 0x0
	;; [unrolled: 1-line block ×3, first 2 shown]
	v_mul_u32_u24_e32 v1, 0x1556, v0
	v_lshrrev_b32_e32 v2, 16, v1
	v_mad_u64_u32 v[4:5], s[2:3], s2, 10, v[2:3]
	v_mov_b32_e32 v2, 0
	v_mov_b32_e32 v5, v2
	s_waitcnt lgkmcnt(0)
	v_cmp_lt_u64_e64 s[2:3], s[6:7], 2
	v_mov_b64_e32 v[6:7], 0
	s_and_b64 vcc, exec, s[2:3]
	v_mov_b64_e32 v[56:57], v[6:7]
	v_mov_b64_e32 v[58:59], v[4:5]
	s_cbranch_vccnz .LBB0_8
; %bb.1:
	s_load_dwordx2 s[2:3], s[0:1], 0x10
	s_add_u32 s16, s14, 8
	s_addc_u32 s17, s15, 0
	s_add_u32 s18, s12, 8
	s_addc_u32 s19, s13, 0
	s_waitcnt lgkmcnt(0)
	s_add_u32 s20, s2, 8
	v_mov_b64_e32 v[6:7], 0
	s_addc_u32 s21, s3, 0
	s_mov_b64 s[22:23], 1
	v_mov_b64_e32 v[56:57], v[6:7]
	v_mov_b64_e32 v[8:9], v[4:5]
.LBB0_2:                                ; =>This Inner Loop Header: Depth=1
	s_load_dwordx2 s[24:25], s[20:21], 0x0
                                        ; implicit-def: $vgpr58_vgpr59
	s_waitcnt lgkmcnt(0)
	v_or_b32_e32 v3, s25, v9
	v_cmp_ne_u64_e32 vcc, 0, v[2:3]
	s_and_saveexec_b64 s[2:3], vcc
	s_xor_b64 s[26:27], exec, s[2:3]
	s_cbranch_execz .LBB0_4
; %bb.3:                                ;   in Loop: Header=BB0_2 Depth=1
	v_cvt_f32_u32_e32 v1, s24
	v_cvt_f32_u32_e32 v3, s25
	s_sub_u32 s2, 0, s24
	s_subb_u32 s3, 0, s25
	v_fmac_f32_e32 v1, 0x4f800000, v3
	v_rcp_f32_e32 v1, v1
	s_nop 0
	v_mul_f32_e32 v1, 0x5f7ffffc, v1
	v_mul_f32_e32 v3, 0x2f800000, v1
	v_trunc_f32_e32 v3, v3
	v_fmac_f32_e32 v1, 0xcf800000, v3
	v_cvt_u32_f32_e32 v3, v3
	v_cvt_u32_f32_e32 v1, v1
	v_mul_lo_u32 v5, s2, v3
	v_mul_hi_u32 v10, s2, v1
	v_mul_lo_u32 v11, s3, v1
	v_add_u32_e32 v5, v10, v5
	v_mul_lo_u32 v14, s2, v1
	v_add_u32_e32 v5, v5, v11
	v_mul_hi_u32 v10, v1, v14
	v_mul_hi_u32 v13, v1, v5
	v_mul_lo_u32 v12, v1, v5
	v_mov_b32_e32 v11, v2
	v_lshl_add_u64 v[10:11], v[10:11], 0, v[12:13]
	v_mul_hi_u32 v13, v3, v14
	v_mul_lo_u32 v14, v3, v14
	v_add_co_u32_e32 v10, vcc, v10, v14
	v_mul_hi_u32 v12, v3, v5
	s_nop 0
	v_addc_co_u32_e32 v10, vcc, v11, v13, vcc
	v_mov_b32_e32 v11, v2
	s_nop 0
	v_addc_co_u32_e32 v13, vcc, 0, v12, vcc
	v_mul_lo_u32 v12, v3, v5
	v_lshl_add_u64 v[10:11], v[10:11], 0, v[12:13]
	v_add_co_u32_e32 v1, vcc, v1, v10
	v_mul_hi_u32 v10, s2, v1
	s_nop 0
	v_addc_co_u32_e32 v3, vcc, v3, v11, vcc
	v_mul_lo_u32 v5, s2, v3
	v_add_u32_e32 v5, v10, v5
	v_mul_lo_u32 v10, s3, v1
	v_add_u32_e32 v5, v5, v10
	v_mul_lo_u32 v12, s2, v1
	v_mul_hi_u32 v15, v3, v12
	v_mul_lo_u32 v16, v3, v12
	v_mul_hi_u32 v11, v1, v5
	;; [unrolled: 2-line block ×3, first 2 shown]
	v_mov_b32_e32 v13, v2
	v_lshl_add_u64 v[10:11], v[12:13], 0, v[10:11]
	v_add_co_u32_e32 v10, vcc, v10, v16
	v_mul_hi_u32 v14, v3, v5
	s_nop 0
	v_addc_co_u32_e32 v10, vcc, v11, v15, vcc
	v_mul_lo_u32 v12, v3, v5
	s_nop 0
	v_addc_co_u32_e32 v13, vcc, 0, v14, vcc
	v_mov_b32_e32 v11, v2
	v_lshl_add_u64 v[10:11], v[10:11], 0, v[12:13]
	v_add_co_u32_e32 v1, vcc, v1, v10
	v_mul_hi_u32 v12, v8, v1
	s_nop 0
	v_addc_co_u32_e32 v3, vcc, v3, v11, vcc
	v_mad_u64_u32 v[10:11], s[2:3], v8, v3, 0
	v_mov_b32_e32 v13, v2
	v_lshl_add_u64 v[10:11], v[12:13], 0, v[10:11]
	v_mad_u64_u32 v[14:15], s[2:3], v9, v1, 0
	v_add_co_u32_e32 v1, vcc, v10, v14
	v_mad_u64_u32 v[12:13], s[2:3], v9, v3, 0
	s_nop 0
	v_addc_co_u32_e32 v10, vcc, v11, v15, vcc
	v_mov_b32_e32 v11, v2
	s_nop 0
	v_addc_co_u32_e32 v13, vcc, 0, v13, vcc
	v_lshl_add_u64 v[10:11], v[10:11], 0, v[12:13]
	v_mul_lo_u32 v1, s25, v10
	v_mul_lo_u32 v3, s24, v11
	v_mad_u64_u32 v[12:13], s[2:3], s24, v10, 0
	v_add3_u32 v1, v13, v3, v1
	v_sub_u32_e32 v3, v9, v1
	v_mov_b32_e32 v5, s25
	v_sub_co_u32_e32 v16, vcc, v8, v12
	v_lshl_add_u64 v[14:15], v[10:11], 0, 1
	s_nop 0
	v_subb_co_u32_e64 v3, s[2:3], v3, v5, vcc
	v_subrev_co_u32_e64 v5, s[2:3], s24, v16
	v_subb_co_u32_e32 v1, vcc, v9, v1, vcc
	s_nop 0
	v_subbrev_co_u32_e64 v3, s[2:3], 0, v3, s[2:3]
	v_cmp_le_u32_e64 s[2:3], s25, v3
	v_cmp_le_u32_e32 vcc, s25, v1
	s_nop 0
	v_cndmask_b32_e64 v12, 0, -1, s[2:3]
	v_cmp_le_u32_e64 s[2:3], s24, v5
	s_nop 1
	v_cndmask_b32_e64 v5, 0, -1, s[2:3]
	v_cmp_eq_u32_e64 s[2:3], s25, v3
	s_nop 1
	v_cndmask_b32_e64 v3, v12, v5, s[2:3]
	v_lshl_add_u64 v[12:13], v[10:11], 0, 2
	v_cmp_ne_u32_e64 s[2:3], 0, v3
	v_cndmask_b32_e64 v5, 0, -1, vcc
	v_cmp_le_u32_e32 vcc, s24, v16
	v_cndmask_b32_e64 v3, v15, v13, s[2:3]
	s_nop 0
	v_cndmask_b32_e64 v13, 0, -1, vcc
	v_cmp_eq_u32_e32 vcc, s25, v1
	s_nop 1
	v_cndmask_b32_e32 v1, v5, v13, vcc
	v_cmp_ne_u32_e32 vcc, 0, v1
	v_cndmask_b32_e64 v1, v14, v12, s[2:3]
	s_nop 0
	v_cndmask_b32_e32 v59, v11, v3, vcc
	v_cndmask_b32_e32 v58, v10, v1, vcc
.LBB0_4:                                ;   in Loop: Header=BB0_2 Depth=1
	s_andn2_saveexec_b64 s[2:3], s[26:27]
	s_cbranch_execz .LBB0_6
; %bb.5:                                ;   in Loop: Header=BB0_2 Depth=1
	v_cvt_f32_u32_e32 v1, s24
	s_sub_i32 s26, 0, s24
	v_mov_b32_e32 v59, v2
	v_rcp_iflag_f32_e32 v1, v1
	s_nop 0
	v_mul_f32_e32 v1, 0x4f7ffffe, v1
	v_cvt_u32_f32_e32 v1, v1
	v_mul_lo_u32 v3, s26, v1
	v_mul_hi_u32 v3, v1, v3
	v_add_u32_e32 v1, v1, v3
	v_mul_hi_u32 v1, v8, v1
	v_mul_lo_u32 v3, v1, s24
	v_sub_u32_e32 v3, v8, v3
	v_add_u32_e32 v5, 1, v1
	v_subrev_u32_e32 v10, s24, v3
	v_cmp_le_u32_e32 vcc, s24, v3
	s_nop 1
	v_cndmask_b32_e32 v3, v3, v10, vcc
	v_cndmask_b32_e32 v1, v1, v5, vcc
	v_add_u32_e32 v5, 1, v1
	v_cmp_le_u32_e32 vcc, s24, v3
	s_nop 1
	v_cndmask_b32_e32 v58, v1, v5, vcc
.LBB0_6:                                ;   in Loop: Header=BB0_2 Depth=1
	s_or_b64 exec, exec, s[2:3]
	v_mad_u64_u32 v[10:11], s[2:3], v58, s24, 0
	s_load_dwordx2 s[2:3], s[18:19], 0x0
	s_add_u32 s22, s22, 1
	v_mul_lo_u32 v1, v59, s24
	v_mul_lo_u32 v3, v58, s25
	s_load_dwordx2 s[24:25], s[16:17], 0x0
	s_addc_u32 s23, s23, 0
	v_add3_u32 v1, v11, v3, v1
	v_sub_co_u32_e32 v3, vcc, v8, v10
	s_add_u32 s16, s16, 8
	s_nop 0
	v_subb_co_u32_e32 v1, vcc, v9, v1, vcc
	s_addc_u32 s17, s17, 0
	s_waitcnt lgkmcnt(0)
	v_mul_lo_u32 v5, s2, v1
	v_mul_lo_u32 v8, s3, v3
	v_mad_u64_u32 v[6:7], s[2:3], s2, v3, v[6:7]
	s_add_u32 s18, s18, 8
	v_add3_u32 v7, v8, v7, v5
	s_addc_u32 s19, s19, 0
	v_mov_b64_e32 v[8:9], s[6:7]
	v_mul_lo_u32 v1, s24, v1
	v_mul_lo_u32 v5, s25, v3
	v_mad_u64_u32 v[56:57], s[2:3], s24, v3, v[56:57]
	s_add_u32 s20, s20, 8
	v_cmp_ge_u64_e32 vcc, s[22:23], v[8:9]
	v_add3_u32 v57, v5, v57, v1
	s_addc_u32 s21, s21, 0
	s_cbranch_vccnz .LBB0_8
; %bb.7:                                ;   in Loop: Header=BB0_2 Depth=1
	v_mov_b64_e32 v[8:9], v[58:59]
	s_branch .LBB0_2
.LBB0_8:
	s_load_dwordx2 s[0:1], s[0:1], 0x28
	s_lshl_b64 s[6:7], s[6:7], 3
	s_add_u32 s2, s14, s6
	s_addc_u32 s3, s15, s7
                                        ; implicit-def: $vgpr70
	s_waitcnt lgkmcnt(0)
	v_cmp_gt_u64_e32 vcc, s[0:1], v[58:59]
	v_cmp_le_u64_e64 s[0:1], s[0:1], v[58:59]
	s_and_saveexec_b64 s[14:15], s[0:1]
	s_xor_b64 s[0:1], exec, s[14:15]
; %bb.9:
	s_mov_b32 s14, 0x15555556
	v_mul_hi_u32 v1, v0, s14
	v_mul_u32_u24_e32 v1, 12, v1
	v_sub_u32_e32 v70, v0, v1
                                        ; implicit-def: $vgpr0
                                        ; implicit-def: $vgpr6_vgpr7
; %bb.10:
	s_or_saveexec_b64 s[0:1], s[0:1]
                                        ; implicit-def: $vgpr38_vgpr39
                                        ; implicit-def: $vgpr34_vgpr35
                                        ; implicit-def: $vgpr30_vgpr31
                                        ; implicit-def: $vgpr26_vgpr27
                                        ; implicit-def: $vgpr22_vgpr23
                                        ; implicit-def: $vgpr14_vgpr15
                                        ; implicit-def: $vgpr2_vgpr3
	s_xor_b64 exec, exec, s[0:1]
	s_cbranch_execz .LBB0_12
; %bb.11:
	s_add_u32 s6, s12, s6
	s_addc_u32 s7, s13, s7
	s_load_dwordx2 s[6:7], s[6:7], 0x0
	s_mov_b32 s12, 0x15555556
	s_waitcnt lgkmcnt(0)
	v_mul_lo_u32 v1, s7, v58
	v_mul_lo_u32 v5, s6, v59
	v_mad_u64_u32 v[2:3], s[6:7], s6, v58, 0
	v_add3_u32 v3, v3, v5, v1
	v_mul_hi_u32 v1, v0, s12
	v_mul_u32_u24_e32 v1, 12, v1
	v_sub_u32_e32 v70, v0, v1
	v_lshl_add_u64 v[0:1], v[2:3], 4, s[8:9]
	v_lshl_add_u64 v[0:1], v[6:7], 4, v[0:1]
	v_lshlrev_b32_e32 v2, 4, v70
	v_mov_b32_e32 v3, 0
	v_lshl_add_u64 v[6:7], v[0:1], 0, v[2:3]
	global_load_dwordx4 v[0:3], v[6:7], off
	global_load_dwordx4 v[12:15], v[6:7], off offset:192
	global_load_dwordx4 v[20:23], v[6:7], off offset:384
	;; [unrolled: 1-line block ×6, first 2 shown]
.LBB0_12:
	s_or_b64 exec, exec, s[0:1]
	s_mov_b32 s0, 0xcccccccd
	v_mul_hi_u32 v5, v4, s0
	v_lshrrev_b32_e32 v5, 3, v5
	v_mul_lo_u32 v5, v5, 10
	v_sub_u32_e32 v4, v4, v5
	v_mul_u32_u24_e32 v60, 0x54, v4
	s_waitcnt vmcnt(0)
	v_add_f64 v[4:5], v[36:37], v[12:13]
	v_add_f64 v[8:9], v[32:33], v[20:21]
	v_add_f64 v[16:17], v[28:29], v[24:25]
	v_add_f64 v[40:41], v[8:9], v[4:5]
	v_add_f64 v[10:11], v[22:23], -v[34:35]
	v_add_f64 v[18:19], v[30:31], -v[26:27]
	;; [unrolled: 1-line block ×5, first 2 shown]
	v_add_f64 v[16:17], v[16:17], v[40:41]
	s_mov_b32 s8, 0x37e14327
	s_mov_b32 s0, 0x36b3c0b5
	;; [unrolled: 1-line block ×3, first 2 shown]
	v_add_f64 v[6:7], v[14:15], -v[38:39]
	v_add_f64 v[44:45], v[18:19], v[10:11]
	v_add_f64 v[46:47], v[18:19], -v[10:11]
	v_add_f64 v[0:1], v[0:1], v[16:17]
	s_mov_b32 s9, 0x3fe948f6
	s_mov_b32 s1, 0x3fac98ee
	;; [unrolled: 1-line block ×6, first 2 shown]
	v_add_f64 v[18:19], v[6:7], -v[18:19]
	v_add_f64 v[10:11], v[10:11], -v[6:7]
	v_add_f64 v[6:7], v[44:45], v[6:7]
	v_mul_f64 v[4:5], v[4:5], s[8:9]
	v_mul_f64 v[40:41], v[8:9], s[0:1]
	;; [unrolled: 1-line block ×3, first 2 shown]
	s_mov_b32 s13, 0x3febfeb5
	s_mov_b32 s17, 0xbff2aaaa
	v_mov_b64_e32 v[48:49], v[0:1]
	s_mov_b32 s19, 0x3fe77f67
	s_mov_b32 s21, 0xbfe77f67
	;; [unrolled: 1-line block ×4, first 2 shown]
	v_fmac_f64_e32 v[48:49], s[16:17], v[16:17]
	v_fma_f64 v[16:17], v[42:43], s[18:19], -v[40:41]
	v_fma_f64 v[40:41], v[42:43], s[20:21], -v[4:5]
	v_fmac_f64_e32 v[4:5], s[0:1], v[8:9]
	s_mov_b32 s22, 0xb247c609
	v_fma_f64 v[8:9], v[10:11], s[12:13], -v[44:45]
	s_mov_b32 s25, 0x3fdc38aa
	v_mul_f64 v[46:47], v[10:11], s[12:13]
	s_mov_b32 s23, 0x3fd5d0dc
	s_mov_b32 s27, 0xbfd5d0dc
	;; [unrolled: 1-line block ×3, first 2 shown]
	v_add_f64 v[16:17], v[16:17], v[48:49]
	v_fmac_f64_e32 v[8:9], s[24:25], v[6:7]
	v_fmac_f64_e32 v[44:45], s[22:23], v[18:19]
	v_fma_f64 v[10:11], v[18:19], s[26:27], -v[46:47]
	v_add_f64 v[46:47], v[16:17], -v[8:9]
	v_add_f64 v[8:9], v[8:9], v[16:17]
	v_lshl_add_u32 v16, v60, 3, 0
	s_load_dwordx2 s[6:7], s[2:3], 0x0
	v_add_f64 v[4:5], v[4:5], v[48:49]
	v_add_f64 v[18:19], v[40:41], v[48:49]
	v_fmac_f64_e32 v[44:45], s[24:25], v[6:7]
	v_fmac_f64_e32 v[10:11], s[24:25], v[6:7]
	v_mad_u32_u24 v40, v70, 56, v16
	s_movk_i32 s2, 0xffd0
	v_add_f64 v[6:7], v[44:45], v[4:5]
	v_add_f64 v[42:43], v[10:11], v[18:19]
	v_add_f64 v[10:11], v[18:19], -v[10:11]
	v_mad_i32_i24 v72, v70, s2, v40
	v_add_f64 v[4:5], v[4:5], -v[44:45]
	ds_write2_b64 v40, v[0:1], v[6:7] offset1:1
	ds_write2_b64 v40, v[42:43], v[46:47] offset0:2 offset1:3
	ds_write2_b64 v40, v[8:9], v[10:11] offset0:4 offset1:5
	ds_write_b64 v40, v[4:5] offset:48
	s_waitcnt lgkmcnt(0)
	s_barrier
	v_lshl_add_u32 v73, v70, 3, v16
	ds_read2_b64 v[16:19], v72 offset0:42 offset1:54
	ds_read2_b64 v[8:11], v72 offset0:12 offset1:24
	ds_read_b64 v[0:1], v73
	ds_read_b64 v[62:63], v72 offset:528
	v_cmp_gt_u32_e64 s[2:3], 6, v70
	s_and_saveexec_b64 s[28:29], s[2:3]
	s_cbranch_execz .LBB0_14
; %bb.13:
	ds_read2_b64 v[4:7], v72 offset0:36 offset1:78
.LBB0_14:
	s_or_b64 exec, exec, s[28:29]
	v_add_f64 v[14:15], v[38:39], v[14:15]
	v_add_f64 v[22:23], v[34:35], v[22:23]
	;; [unrolled: 1-line block ×3, first 2 shown]
	v_add_f64 v[24:25], v[28:29], -v[24:25]
	v_add_f64 v[28:29], v[22:23], v[14:15]
	v_add_f64 v[20:21], v[20:21], -v[32:33]
	v_add_f64 v[30:31], v[22:23], -v[14:15]
	;; [unrolled: 1-line block ×4, first 2 shown]
	v_add_f64 v[26:27], v[26:27], v[28:29]
	v_add_f64 v[12:13], v[12:13], -v[36:37]
	v_add_f64 v[32:33], v[24:25], v[20:21]
	v_add_f64 v[34:35], v[24:25], -v[20:21]
	;; [unrolled: 2-line block ×3, first 2 shown]
	v_add_f64 v[20:21], v[20:21], -v[12:13]
	v_add_f64 v[12:13], v[32:33], v[12:13]
	v_mul_f64 v[14:15], v[14:15], s[8:9]
	v_mul_f64 v[28:29], v[22:23], s[0:1]
	;; [unrolled: 1-line block ×3, first 2 shown]
	v_mov_b64_e32 v[36:37], v[2:3]
	v_mul_f64 v[34:35], v[20:21], s[12:13]
	v_fmac_f64_e32 v[36:37], s[16:17], v[26:27]
	v_fma_f64 v[26:27], v[30:31], s[18:19], -v[28:29]
	v_fma_f64 v[28:29], v[30:31], s[20:21], -v[14:15]
	v_fmac_f64_e32 v[14:15], s[0:1], v[22:23]
	v_fma_f64 v[20:21], v[20:21], s[12:13], -v[32:33]
	v_fmac_f64_e32 v[32:33], s[22:23], v[24:25]
	v_fma_f64 v[22:23], v[24:25], s[26:27], -v[34:35]
	v_add_f64 v[14:15], v[14:15], v[36:37]
	v_fmac_f64_e32 v[32:33], s[24:25], v[12:13]
	v_add_f64 v[24:25], v[26:27], v[36:37]
	v_add_f64 v[26:27], v[28:29], v[36:37]
	v_fmac_f64_e32 v[20:21], s[24:25], v[12:13]
	v_fmac_f64_e32 v[22:23], s[24:25], v[12:13]
	v_add_f64 v[12:13], v[14:15], -v[32:33]
	v_add_f64 v[28:29], v[26:27], -v[22:23]
	v_add_f64 v[30:31], v[20:21], v[24:25]
	v_add_f64 v[24:25], v[24:25], -v[20:21]
	v_add_f64 v[22:23], v[22:23], v[26:27]
	v_add_f64 v[20:21], v[32:33], v[14:15]
	s_waitcnt lgkmcnt(0)
	s_barrier
	ds_write2_b64 v40, v[2:3], v[12:13] offset1:1
	ds_write2_b64 v40, v[28:29], v[30:31] offset0:2 offset1:3
	ds_write2_b64 v40, v[24:25], v[22:23] offset0:4 offset1:5
	ds_write_b64 v40, v[20:21] offset:48
	s_waitcnt lgkmcnt(0)
	s_barrier
	ds_read2_b64 v[36:39], v72 offset0:42 offset1:54
	ds_read2_b64 v[32:35], v72 offset0:12 offset1:24
	ds_read_b64 v[66:67], v73
	ds_read_b64 v[68:69], v72 offset:528
	s_and_saveexec_b64 s[0:1], s[2:3]
	s_cbranch_execz .LBB0_16
; %bb.15:
	ds_read2_b64 v[20:23], v72 offset0:36 offset1:78
.LBB0_16:
	s_or_b64 exec, exec, s[0:1]
	v_add_u32_e32 v2, -7, v70
	v_cmp_gt_u32_e64 s[0:1], 7, v70
	v_mov_b32_e32 v3, 0
	v_add_u32_e32 v71, 12, v70
	v_cndmask_b32_e64 v2, v2, v70, s[0:1]
	v_lshl_add_u64 v[12:13], v[2:3], 4, s[4:5]
	v_mov_b32_e32 v3, 37
	v_mul_lo_u16_sdwa v14, v71, v3 dst_sel:DWORD dst_unused:UNUSED_PAD src0_sel:BYTE_0 src1_sel:DWORD
	v_sub_u16_sdwa v15, v71, v14 dst_sel:DWORD dst_unused:UNUSED_PAD src0_sel:DWORD src1_sel:BYTE_1
	v_lshrrev_b16_e32 v15, 1, v15
	v_and_b32_e32 v15, 0x7f, v15
	v_add_u16_sdwa v14, v15, v14 dst_sel:DWORD dst_unused:UNUSED_PAD src0_sel:DWORD src1_sel:BYTE_1
	v_lshrrev_b16_e32 v14, 2, v14
	v_mul_lo_u16_e32 v15, 7, v14
	v_sub_u16_e32 v15, v71, v15
	v_mov_b32_e32 v24, 4
	v_lshlrev_b32_sdwa v25, v24, v15 dst_sel:DWORD dst_unused:UNUSED_PAD src0_sel:DWORD src1_sel:BYTE_0
	global_load_dwordx4 v[44:47], v[12:13], off
	global_load_dwordx4 v[40:43], v25, s[4:5]
	v_add_u16_e32 v12, 24, v70
	v_mul_lo_u16_sdwa v13, v12, v3 dst_sel:DWORD dst_unused:UNUSED_PAD src0_sel:BYTE_0 src1_sel:DWORD
	v_add_u16_e32 v26, 36, v70
	v_sub_u16_sdwa v25, v12, v13 dst_sel:DWORD dst_unused:UNUSED_PAD src0_sel:DWORD src1_sel:BYTE_1
	v_mul_lo_u16_sdwa v3, v26, v3 dst_sel:DWORD dst_unused:UNUSED_PAD src0_sel:BYTE_0 src1_sel:DWORD
	v_lshrrev_b16_e32 v25, 1, v25
	v_sub_u16_sdwa v27, v26, v3 dst_sel:DWORD dst_unused:UNUSED_PAD src0_sel:DWORD src1_sel:BYTE_1
	v_and_b32_e32 v25, 0x7f, v25
	v_lshrrev_b16_e32 v27, 1, v27
	v_add_u16_sdwa v13, v25, v13 dst_sel:DWORD dst_unused:UNUSED_PAD src0_sel:DWORD src1_sel:BYTE_1
	v_and_b32_e32 v27, 0x7f, v27
	v_lshrrev_b16_e32 v13, 2, v13
	v_add_u16_sdwa v3, v27, v3 dst_sel:DWORD dst_unused:UNUSED_PAD src0_sel:DWORD src1_sel:BYTE_1
	v_mul_lo_u16_e32 v25, 7, v13
	v_lshrrev_b16_e32 v3, 2, v3
	v_sub_u16_e32 v25, v12, v25
	v_mul_lo_u16_e32 v3, 7, v3
	v_lshlrev_b32_sdwa v12, v24, v25 dst_sel:DWORD dst_unused:UNUSED_PAD src0_sel:DWORD src1_sel:BYTE_0
	v_sub_u16_e32 v74, v26, v3
	v_lshlrev_b32_sdwa v3, v24, v74 dst_sel:DWORD dst_unused:UNUSED_PAD src0_sel:DWORD src1_sel:BYTE_0
	global_load_dwordx4 v[52:55], v12, s[4:5]
	global_load_dwordx4 v[48:51], v3, s[4:5]
	v_mov_b32_e32 v3, 0x70
	v_cmp_lt_u32_e64 s[0:1], 6, v70
	s_movk_i32 s8, 0x70
	v_lshlrev_b32_e32 v75, 3, v60
	v_cndmask_b32_e64 v3, 0, v3, s[0:1]
	v_mov_b32_e32 v12, 3
	v_add_u32_e32 v3, 0, v3
	v_lshlrev_b32_e32 v2, 3, v2
	v_add3_u32 v76, v3, v2, v75
	v_mad_u32_u24 v2, v14, s8, 0
	v_mad_u32_u24 v3, v13, s8, 0
	v_lshlrev_b32_sdwa v13, v12, v15 dst_sel:DWORD dst_unused:UNUSED_PAD src0_sel:DWORD src1_sel:BYTE_0
	v_lshlrev_b32_sdwa v14, v12, v25 dst_sel:DWORD dst_unused:UNUSED_PAD src0_sel:DWORD src1_sel:BYTE_0
	v_add3_u32 v77, v2, v13, v75
	v_add3_u32 v78, v3, v14, v75
	s_waitcnt lgkmcnt(0)
	s_barrier
	s_waitcnt vmcnt(3)
	v_mul_f64 v[2:3], v[36:37], v[46:47]
	v_fma_f64 v[2:3], v[16:17], v[44:45], -v[2:3]
	v_add_f64 v[2:3], v[0:1], -v[2:3]
	v_fma_f64 v[0:1], v[0:1], 2.0, -v[2:3]
	ds_write2_b64 v76, v[0:1], v[2:3] offset1:7
	s_waitcnt vmcnt(2)
	v_mul_f64 v[0:1], v[38:39], v[42:43]
	v_fma_f64 v[0:1], v[18:19], v[40:41], -v[0:1]
	v_add_f64 v[24:25], v[8:9], -v[0:1]
	v_fma_f64 v[8:9], v[8:9], 2.0, -v[24:25]
	s_waitcnt vmcnt(1)
	v_mul_f64 v[2:3], v[68:69], v[54:55]
	s_waitcnt vmcnt(0)
	v_mul_f64 v[14:15], v[22:23], v[50:51]
	v_fma_f64 v[2:3], v[62:63], v[52:53], -v[2:3]
	v_fma_f64 v[14:15], v[6:7], v[48:49], -v[14:15]
	v_add_f64 v[26:27], v[10:11], -v[2:3]
	v_add_f64 v[2:3], v[4:5], -v[14:15]
	v_fma_f64 v[0:1], v[4:5], 2.0, -v[2:3]
	v_fma_f64 v[10:11], v[10:11], 2.0, -v[26:27]
	ds_write2_b64 v77, v[8:9], v[24:25] offset1:7
	ds_write2_b64 v78, v[10:11], v[26:27] offset1:7
	s_and_saveexec_b64 s[0:1], s[2:3]
	s_cbranch_execz .LBB0_18
; %bb.17:
	v_lshlrev_b32_sdwa v4, v12, v74 dst_sel:DWORD dst_unused:UNUSED_PAD src0_sel:DWORD src1_sel:BYTE_0
	v_add3_u32 v4, 0, v4, v75
	ds_write2_b64 v4, v[0:1], v[2:3] offset0:70 offset1:77
.LBB0_18:
	s_or_b64 exec, exec, s[0:1]
	s_waitcnt lgkmcnt(0)
	s_barrier
	ds_read2_b64 v[24:27], v72 offset0:14 offset1:28
	ds_read2_b64 v[28:31], v72 offset0:42 offset1:56
	ds_read_b64 v[60:61], v73
	ds_read_b64 v[64:65], v72 offset:560
	v_cmp_gt_u32_e64 s[0:1], 2, v70
                                        ; implicit-def: $vgpr10_vgpr11
                                        ; implicit-def: $vgpr14_vgpr15
	s_and_saveexec_b64 s[8:9], s[0:1]
	s_cbranch_execz .LBB0_20
; %bb.19:
	ds_read2_b64 v[0:3], v72 offset0:12 offset1:26
	ds_read2_b64 v[12:15], v72 offset0:40 offset1:54
	;; [unrolled: 1-line block ×3, first 2 shown]
.LBB0_20:
	s_or_b64 exec, exec, s[8:9]
	v_mul_f64 v[4:5], v[16:17], v[46:47]
	v_mul_f64 v[6:7], v[6:7], v[50:51]
	v_fmac_f64_e32 v[4:5], v[36:37], v[44:45]
	v_mul_f64 v[16:17], v[18:19], v[42:43]
	v_mul_f64 v[18:19], v[62:63], v[54:55]
	v_fmac_f64_e32 v[6:7], v[22:23], v[48:49]
	v_fmac_f64_e32 v[16:17], v[38:39], v[40:41]
	;; [unrolled: 1-line block ×3, first 2 shown]
	v_add_f64 v[22:23], v[66:67], -v[4:5]
	v_add_f64 v[6:7], v[20:21], -v[6:7]
	v_fma_f64 v[36:37], v[66:67], 2.0, -v[22:23]
	v_add_f64 v[16:17], v[32:33], -v[16:17]
	v_add_f64 v[18:19], v[34:35], -v[18:19]
	v_fma_f64 v[4:5], v[20:21], 2.0, -v[6:7]
	v_fma_f64 v[32:33], v[32:33], 2.0, -v[16:17]
	;; [unrolled: 1-line block ×3, first 2 shown]
	s_waitcnt lgkmcnt(0)
	s_barrier
	ds_write2_b64 v76, v[36:37], v[22:23] offset1:7
	ds_write2_b64 v77, v[32:33], v[16:17] offset1:7
	;; [unrolled: 1-line block ×3, first 2 shown]
	s_and_saveexec_b64 s[8:9], s[2:3]
	s_cbranch_execz .LBB0_22
; %bb.21:
	v_mov_b32_e32 v16, 3
	v_lshlrev_b32_sdwa v16, v16, v74 dst_sel:DWORD dst_unused:UNUSED_PAD src0_sel:DWORD src1_sel:BYTE_0
	v_add3_u32 v16, 0, v16, v75
	ds_write2_b64 v16, v[4:5], v[6:7] offset0:70 offset1:77
.LBB0_22:
	s_or_b64 exec, exec, s[8:9]
	s_waitcnt lgkmcnt(0)
	s_barrier
	ds_read2_b64 v[32:35], v72 offset0:14 offset1:28
	ds_read2_b64 v[36:39], v72 offset0:42 offset1:56
	ds_read_b64 v[40:41], v73
	ds_read_b64 v[42:43], v72 offset:560
                                        ; implicit-def: $vgpr18_vgpr19
                                        ; implicit-def: $vgpr22_vgpr23
	s_and_saveexec_b64 s[2:3], s[0:1]
	s_cbranch_execz .LBB0_24
; %bb.23:
	ds_read2_b64 v[4:7], v72 offset0:12 offset1:26
	ds_read2_b64 v[20:23], v72 offset0:40 offset1:54
	ds_read2_b64 v[16:19], v72 offset0:68 offset1:82
.LBB0_24:
	s_or_b64 exec, exec, s[2:3]
	s_and_saveexec_b64 s[2:3], vcc
	s_cbranch_execz .LBB0_27
; %bb.25:
	v_mul_u32_u24_e32 v44, 5, v70
	v_lshlrev_b32_e32 v62, 4, v44
	global_load_dwordx4 v[44:47], v62, s[4:5] offset:128
	global_load_dwordx4 v[48:51], v62, s[4:5] offset:160
	global_load_dwordx4 v[52:55], v62, s[4:5] offset:112
	global_load_dwordx4 v[66:69], v62, s[4:5] offset:144
	global_load_dwordx4 v[72:75], v62, s[4:5] offset:176
	v_mul_lo_u32 v62, s7, v58
	v_mul_lo_u32 v63, s6, v59
	v_mad_u64_u32 v[58:59], s[2:3], s6, v58, 0
	v_lshrrev_b32_e32 v76, 1, v70
	s_mov_b32 s8, 0x92492493
	v_add3_u32 v59, v59, v63, v62
	v_mul_hi_u32 v62, v76, s8
	v_lshrrev_b32_e32 v62, 2, v62
	v_mul_lo_u32 v62, v62, 14
	v_sub_u32_e32 v84, v70, v62
	s_mov_b32 s2, 0xe8584caa
	s_mov_b32 s3, 0x3febb67a
	;; [unrolled: 1-line block ×4, first 2 shown]
	s_waitcnt vmcnt(4) lgkmcnt(3)
	v_mul_f64 v[62:63], v[34:35], v[46:47]
	s_waitcnt vmcnt(3) lgkmcnt(2)
	v_mul_f64 v[76:77], v[38:39], v[50:51]
	v_mul_f64 v[46:47], v[26:27], v[46:47]
	;; [unrolled: 1-line block ×3, first 2 shown]
	s_waitcnt vmcnt(1)
	v_mul_f64 v[80:81], v[36:37], v[68:69]
	s_waitcnt vmcnt(0) lgkmcnt(0)
	v_mul_f64 v[82:83], v[42:43], v[74:75]
	v_mul_f64 v[68:69], v[28:29], v[68:69]
	;; [unrolled: 1-line block ×5, first 2 shown]
	v_fmac_f64_e32 v[46:47], v[34:35], v[44:45]
	v_fmac_f64_e32 v[50:51], v[38:39], v[48:49]
	;; [unrolled: 1-line block ×4, first 2 shown]
	v_fma_f64 v[26:27], v[26:27], v[44:45], -v[62:63]
	v_fma_f64 v[30:31], v[30:31], v[48:49], -v[76:77]
	;; [unrolled: 1-line block ×5, first 2 shown]
	v_fmac_f64_e32 v[54:55], v[32:33], v[52:53]
	v_add_f64 v[36:37], v[46:47], v[50:51]
	v_add_f64 v[48:49], v[68:69], v[74:75]
	v_add_f64 v[32:33], v[26:27], -v[30:31]
	v_add_f64 v[38:39], v[28:29], v[34:35]
	v_add_f64 v[44:45], v[28:29], -v[34:35]
	v_add_f64 v[52:53], v[40:41], v[46:47]
	v_add_f64 v[64:65], v[26:27], v[30:31]
	;; [unrolled: 1-line block ×4, first 2 shown]
	v_fma_f64 v[66:67], -0.5, v[36:37], v[40:41]
	v_fma_f64 v[36:37], -0.5, v[48:49], v[54:55]
	v_add_f64 v[42:43], v[68:69], -v[74:75]
	v_add_f64 v[46:47], v[46:47], -v[50:51]
	v_fma_f64 v[24:25], -0.5, v[38:39], v[24:25]
	v_add_f64 v[38:39], v[52:53], v[50:51]
	v_fma_f64 v[48:49], -0.5, v[64:65], v[60:61]
	v_add_f64 v[26:27], v[26:27], v[30:31]
	v_add_f64 v[50:51], v[28:29], v[34:35]
	v_fma_f64 v[60:61], s[2:3], v[44:45], v[36:37]
	v_fmac_f64_e32 v[36:37], s[6:7], v[44:45]
	v_add_f64 v[62:63], v[54:55], v[68:69]
	v_fma_f64 v[52:53], s[2:3], v[32:33], v[66:67]
	v_fma_f64 v[54:55], s[6:7], v[42:43], v[24:25]
	v_fmac_f64_e32 v[66:67], s[6:7], v[32:33]
	v_fmac_f64_e32 v[24:25], s[2:3], v[42:43]
	v_add_f64 v[28:29], v[26:27], -v[50:51]
	v_add_f64 v[32:33], v[26:27], v[50:51]
	v_mul_f64 v[26:27], v[60:61], -0.5
	v_mul_f64 v[64:65], v[36:37], s[2:3]
	v_add_f64 v[40:41], v[62:63], v[74:75]
	v_mul_f64 v[50:51], v[24:25], s[6:7]
	v_fmac_f64_e32 v[26:27], s[6:7], v[54:55]
	v_fmac_f64_e32 v[64:65], 0.5, v[24:25]
	v_lshl_add_u64 v[24:25], v[58:59], 4, s[10:11]
	v_add_f64 v[30:31], v[38:39], -v[40:41]
	v_fma_f64 v[44:45], s[6:7], v[46:47], v[48:49]
	v_fmac_f64_e32 v[48:49], s[2:3], v[46:47]
	v_add_f64 v[34:35], v[38:39], v[40:41]
	v_mul_f64 v[62:63], v[54:55], -0.5
	v_add_f64 v[38:39], v[52:53], -v[26:27]
	v_add_f64 v[46:47], v[52:53], v[26:27]
	v_lshl_add_u64 v[24:25], v[56:57], 4, v[24:25]
	v_lshlrev_b32_e32 v26, 4, v84
	v_mov_b32_e32 v27, 0
	v_fmac_f64_e32 v[50:51], 0.5, v[36:37]
	v_fmac_f64_e32 v[62:63], s[2:3], v[60:61]
	v_lshl_add_u64 v[52:53], v[24:25], 0, v[26:27]
	v_add_f64 v[42:43], v[66:67], -v[50:51]
	v_add_f64 v[36:37], v[44:45], -v[62:63]
	;; [unrolled: 1-line block ×3, first 2 shown]
	v_add_f64 v[50:51], v[66:67], v[50:51]
	v_add_f64 v[44:45], v[44:45], v[62:63]
	;; [unrolled: 1-line block ×3, first 2 shown]
	global_store_dwordx4 v[52:53], v[32:35], off
	global_store_dwordx4 v[52:53], v[48:51], off offset:224
	global_store_dwordx4 v[52:53], v[44:47], off offset:448
	;; [unrolled: 1-line block ×5, first 2 shown]
	v_add_u32_e32 v28, 12, v70
	v_cmp_gt_u32_e32 vcc, 14, v28
	s_and_b64 exec, exec, vcc
	s_cbranch_execz .LBB0_27
; %bb.26:
	v_add_u32_e32 v26, -2, v70
	v_cndmask_b32_e64 v26, v26, v71, s[0:1]
	v_mul_i32_i24_e32 v26, 5, v26
	v_lshl_add_u64 v[50:51], v[26:27], 4, s[4:5]
	global_load_dwordx4 v[30:33], v[50:51], off offset:112
	global_load_dwordx4 v[34:37], v[50:51], off offset:128
	;; [unrolled: 1-line block ×5, first 2 shown]
	v_add_u32_e32 v26, 26, v70
	v_lshl_add_u64 v[50:51], v[26:27], 4, v[24:25]
	v_add_u32_e32 v26, 40, v70
	v_lshl_add_u64 v[52:53], v[26:27], 4, v[24:25]
	v_add_u32_e32 v26, 54, v70
	v_mov_b32_e32 v29, v27
	v_lshl_add_u64 v[54:55], v[26:27], 4, v[24:25]
	v_add_u32_e32 v26, 0x44, v70
	v_lshl_add_u64 v[28:29], v[28:29], 4, v[24:25]
	v_lshl_add_u64 v[56:57], v[26:27], 4, v[24:25]
	v_add_u32_e32 v26, 0x52, v70
	s_waitcnt vmcnt(4)
	v_mul_f64 v[58:59], v[6:7], v[32:33]
	v_mul_f64 v[32:33], v[2:3], v[32:33]
	s_waitcnt vmcnt(3)
	v_mul_f64 v[60:61], v[20:21], v[36:37]
	v_mul_f64 v[36:37], v[12:13], v[36:37]
	;; [unrolled: 3-line block ×5, first 2 shown]
	v_fmac_f64_e32 v[32:33], v[6:7], v[30:31]
	v_fma_f64 v[6:7], v[12:13], v[34:35], -v[60:61]
	v_fmac_f64_e32 v[36:37], v[20:21], v[34:35]
	v_fma_f64 v[12:13], v[14:15], v[38:39], -v[62:63]
	v_fmac_f64_e32 v[40:41], v[22:23], v[38:39]
	v_fmac_f64_e32 v[44:45], v[16:17], v[42:43]
	v_fma_f64 v[10:11], v[10:11], v[46:47], -v[66:67]
	v_fmac_f64_e32 v[48:49], v[18:19], v[46:47]
	v_fma_f64 v[2:3], v[2:3], v[30:31], -v[58:59]
	v_fma_f64 v[8:9], v[8:9], v[42:43], -v[64:65]
	v_add_f64 v[18:19], v[36:37], -v[44:45]
	v_add_f64 v[20:21], v[4:5], v[36:37]
	v_add_f64 v[22:23], v[36:37], v[44:45]
	;; [unrolled: 1-line block ×3, first 2 shown]
	v_add_f64 v[36:37], v[40:41], -v[48:49]
	v_add_f64 v[38:39], v[32:33], v[40:41]
	v_add_f64 v[40:41], v[40:41], v[48:49]
	;; [unrolled: 1-line block ×5, first 2 shown]
	v_add_f64 v[12:13], v[12:13], -v[10:11]
	v_fmac_f64_e32 v[2:3], -0.5, v[34:35]
	v_fmac_f64_e32 v[32:33], -0.5, v[40:41]
	v_add_f64 v[6:7], v[6:7], -v[8:9]
	v_add_f64 v[14:15], v[14:15], v[8:9]
	v_fmac_f64_e32 v[0:1], -0.5, v[16:17]
	v_add_f64 v[16:17], v[20:21], v[44:45]
	v_fmac_f64_e32 v[4:5], -0.5, v[22:23]
	v_add_f64 v[10:11], v[30:31], v[10:11]
	v_add_f64 v[20:21], v[38:39], v[48:49]
	v_fma_f64 v[30:31], s[2:3], v[36:37], v[2:3]
	v_fmac_f64_e32 v[2:3], s[6:7], v[36:37]
	v_fma_f64 v[34:35], s[6:7], v[12:13], v[32:33]
	v_fmac_f64_e32 v[32:33], s[2:3], v[12:13]
	;; [unrolled: 2-line block ×4, first 2 shown]
	v_add_f64 v[6:7], v[14:15], v[10:11]
	v_add_f64 v[8:9], v[16:17], v[20:21]
	v_add_f64 v[10:11], v[14:15], -v[10:11]
	v_add_f64 v[12:13], v[16:17], -v[20:21]
	v_mul_f64 v[14:15], v[34:35], s[2:3]
	v_mul_f64 v[16:17], v[2:3], -0.5
	v_mul_f64 v[20:21], v[30:31], s[6:7]
	v_mul_f64 v[36:37], v[32:33], -0.5
	v_fmac_f64_e32 v[14:15], 0.5, v[30:31]
	v_fmac_f64_e32 v[16:17], s[2:3], v[32:33]
	v_fmac_f64_e32 v[20:21], 0.5, v[34:35]
	v_fmac_f64_e32 v[36:37], s[6:7], v[2:3]
	global_store_dwordx4 v[28:29], v[6:9], off
	global_store_dwordx4 v[54:55], v[10:13], off
	v_add_f64 v[2:3], v[4:5], -v[36:37]
	v_add_f64 v[6:7], v[22:23], v[14:15]
	v_add_f64 v[10:11], v[0:1], v[16:17]
	;; [unrolled: 1-line block ×4, first 2 shown]
	v_add_f64 v[0:1], v[0:1], -v[16:17]
	v_lshl_add_u64 v[4:5], v[26:27], 4, v[24:25]
	v_add_f64 v[14:15], v[22:23], -v[14:15]
	v_add_f64 v[16:17], v[18:19], -v[20:21]
	global_store_dwordx4 v[50:51], v[6:9], off
	global_store_dwordx4 v[52:53], v[10:13], off
	;; [unrolled: 1-line block ×4, first 2 shown]
.LBB0_27:
	s_endpgm
	.section	.rodata,"a",@progbits
	.p2align	6, 0x0
	.amdhsa_kernel fft_rtc_fwd_len84_factors_7_2_6_wgs_120_tpt_12_halfLds_dp_op_CI_CI_unitstride_sbrr_dirReg
		.amdhsa_group_segment_fixed_size 0
		.amdhsa_private_segment_fixed_size 0
		.amdhsa_kernarg_size 104
		.amdhsa_user_sgpr_count 2
		.amdhsa_user_sgpr_dispatch_ptr 0
		.amdhsa_user_sgpr_queue_ptr 0
		.amdhsa_user_sgpr_kernarg_segment_ptr 1
		.amdhsa_user_sgpr_dispatch_id 0
		.amdhsa_user_sgpr_kernarg_preload_length 0
		.amdhsa_user_sgpr_kernarg_preload_offset 0
		.amdhsa_user_sgpr_private_segment_size 0
		.amdhsa_uses_dynamic_stack 0
		.amdhsa_enable_private_segment 0
		.amdhsa_system_sgpr_workgroup_id_x 1
		.amdhsa_system_sgpr_workgroup_id_y 0
		.amdhsa_system_sgpr_workgroup_id_z 0
		.amdhsa_system_sgpr_workgroup_info 0
		.amdhsa_system_vgpr_workitem_id 0
		.amdhsa_next_free_vgpr 85
		.amdhsa_next_free_sgpr 30
		.amdhsa_accum_offset 88
		.amdhsa_reserve_vcc 1
		.amdhsa_float_round_mode_32 0
		.amdhsa_float_round_mode_16_64 0
		.amdhsa_float_denorm_mode_32 3
		.amdhsa_float_denorm_mode_16_64 3
		.amdhsa_dx10_clamp 1
		.amdhsa_ieee_mode 1
		.amdhsa_fp16_overflow 0
		.amdhsa_tg_split 0
		.amdhsa_exception_fp_ieee_invalid_op 0
		.amdhsa_exception_fp_denorm_src 0
		.amdhsa_exception_fp_ieee_div_zero 0
		.amdhsa_exception_fp_ieee_overflow 0
		.amdhsa_exception_fp_ieee_underflow 0
		.amdhsa_exception_fp_ieee_inexact 0
		.amdhsa_exception_int_div_zero 0
	.end_amdhsa_kernel
	.text
.Lfunc_end0:
	.size	fft_rtc_fwd_len84_factors_7_2_6_wgs_120_tpt_12_halfLds_dp_op_CI_CI_unitstride_sbrr_dirReg, .Lfunc_end0-fft_rtc_fwd_len84_factors_7_2_6_wgs_120_tpt_12_halfLds_dp_op_CI_CI_unitstride_sbrr_dirReg
                                        ; -- End function
	.section	.AMDGPU.csdata,"",@progbits
; Kernel info:
; codeLenInByte = 4800
; NumSgprs: 36
; NumVgprs: 85
; NumAgprs: 0
; TotalNumVgprs: 85
; ScratchSize: 0
; MemoryBound: 1
; FloatMode: 240
; IeeeMode: 1
; LDSByteSize: 0 bytes/workgroup (compile time only)
; SGPRBlocks: 4
; VGPRBlocks: 10
; NumSGPRsForWavesPerEU: 36
; NumVGPRsForWavesPerEU: 85
; AccumOffset: 88
; Occupancy: 5
; WaveLimiterHint : 1
; COMPUTE_PGM_RSRC2:SCRATCH_EN: 0
; COMPUTE_PGM_RSRC2:USER_SGPR: 2
; COMPUTE_PGM_RSRC2:TRAP_HANDLER: 0
; COMPUTE_PGM_RSRC2:TGID_X_EN: 1
; COMPUTE_PGM_RSRC2:TGID_Y_EN: 0
; COMPUTE_PGM_RSRC2:TGID_Z_EN: 0
; COMPUTE_PGM_RSRC2:TIDIG_COMP_CNT: 0
; COMPUTE_PGM_RSRC3_GFX90A:ACCUM_OFFSET: 21
; COMPUTE_PGM_RSRC3_GFX90A:TG_SPLIT: 0
	.text
	.p2alignl 6, 3212836864
	.fill 256, 4, 3212836864
	.type	__hip_cuid_2eba7398e0ab9cd6,@object ; @__hip_cuid_2eba7398e0ab9cd6
	.section	.bss,"aw",@nobits
	.globl	__hip_cuid_2eba7398e0ab9cd6
__hip_cuid_2eba7398e0ab9cd6:
	.byte	0                               ; 0x0
	.size	__hip_cuid_2eba7398e0ab9cd6, 1

	.ident	"AMD clang version 19.0.0git (https://github.com/RadeonOpenCompute/llvm-project roc-6.4.0 25133 c7fe45cf4b819c5991fe208aaa96edf142730f1d)"
	.section	".note.GNU-stack","",@progbits
	.addrsig
	.addrsig_sym __hip_cuid_2eba7398e0ab9cd6
	.amdgpu_metadata
---
amdhsa.kernels:
  - .agpr_count:     0
    .args:
      - .actual_access:  read_only
        .address_space:  global
        .offset:         0
        .size:           8
        .value_kind:     global_buffer
      - .offset:         8
        .size:           8
        .value_kind:     by_value
      - .actual_access:  read_only
        .address_space:  global
        .offset:         16
        .size:           8
        .value_kind:     global_buffer
      - .actual_access:  read_only
        .address_space:  global
        .offset:         24
        .size:           8
        .value_kind:     global_buffer
      - .actual_access:  read_only
        .address_space:  global
        .offset:         32
        .size:           8
        .value_kind:     global_buffer
      - .offset:         40
        .size:           8
        .value_kind:     by_value
      - .actual_access:  read_only
        .address_space:  global
        .offset:         48
        .size:           8
        .value_kind:     global_buffer
      - .actual_access:  read_only
        .address_space:  global
        .offset:         56
        .size:           8
        .value_kind:     global_buffer
      - .offset:         64
        .size:           4
        .value_kind:     by_value
      - .actual_access:  read_only
        .address_space:  global
        .offset:         72
        .size:           8
        .value_kind:     global_buffer
      - .actual_access:  read_only
        .address_space:  global
        .offset:         80
        .size:           8
        .value_kind:     global_buffer
      - .actual_access:  read_only
        .address_space:  global
        .offset:         88
        .size:           8
        .value_kind:     global_buffer
      - .actual_access:  write_only
        .address_space:  global
        .offset:         96
        .size:           8
        .value_kind:     global_buffer
    .group_segment_fixed_size: 0
    .kernarg_segment_align: 8
    .kernarg_segment_size: 104
    .language:       OpenCL C
    .language_version:
      - 2
      - 0
    .max_flat_workgroup_size: 120
    .name:           fft_rtc_fwd_len84_factors_7_2_6_wgs_120_tpt_12_halfLds_dp_op_CI_CI_unitstride_sbrr_dirReg
    .private_segment_fixed_size: 0
    .sgpr_count:     36
    .sgpr_spill_count: 0
    .symbol:         fft_rtc_fwd_len84_factors_7_2_6_wgs_120_tpt_12_halfLds_dp_op_CI_CI_unitstride_sbrr_dirReg.kd
    .uniform_work_group_size: 1
    .uses_dynamic_stack: false
    .vgpr_count:     85
    .vgpr_spill_count: 0
    .wavefront_size: 64
amdhsa.target:   amdgcn-amd-amdhsa--gfx950
amdhsa.version:
  - 1
  - 2
...

	.end_amdgpu_metadata
